;; amdgpu-corpus repo=zjin-lcf/HeCBench kind=compiled arch=gfx1250 opt=O3
	.amdgcn_target "amdgcn-amd-amdhsa--gfx1250"
	.amdhsa_code_object_version 6
	.text
	.protected	_Z13device_memsetPfi    ; -- Begin function _Z13device_memsetPfi
	.globl	_Z13device_memsetPfi
	.p2align	8
	.type	_Z13device_memsetPfi,@function
_Z13device_memsetPfi:                   ; @_Z13device_memsetPfi
; %bb.0:
	s_clause 0x1
	s_load_b32 s2, s[0:1], 0x1c
	s_load_b32 s3, s[0:1], 0x8
	s_bfe_u32 s4, ttmp6, 0x4000c
	s_and_b32 s5, ttmp6, 15
	s_add_co_i32 s4, s4, 1
	s_getreg_b32 s6, hwreg(HW_REG_IB_STS2, 6, 4)
	s_mul_i32 s4, ttmp9, s4
	s_delay_alu instid0(SALU_CYCLE_1) | instskip(SKIP_4) | instid1(SALU_CYCLE_1)
	s_add_co_i32 s5, s5, s4
	s_wait_kmcnt 0x0
	s_and_b32 s2, s2, 0xffff
	s_cmp_eq_u32 s6, 0
	s_cselect_b32 s4, ttmp9, s5
	v_mad_u32 v0, s4, s2, v0
	s_mov_b32 s2, exec_lo
	s_delay_alu instid0(VALU_DEP_1)
	v_cmpx_gt_i32_e64 s3, v0
	s_cbranch_execz .LBB0_2
; %bb.1:
	s_load_b64 s[0:1], s[0:1], 0x0
	v_mov_b32_e32 v1, 0
	s_wait_kmcnt 0x0
	global_store_b32 v0, v1, s[0:1] scale_offset
.LBB0_2:
	s_endpgm
	.section	.rodata,"a",@progbits
	.p2align	6, 0x0
	.amdhsa_kernel _Z13device_memsetPfi
		.amdhsa_group_segment_fixed_size 0
		.amdhsa_private_segment_fixed_size 0
		.amdhsa_kernarg_size 272
		.amdhsa_user_sgpr_count 2
		.amdhsa_user_sgpr_dispatch_ptr 0
		.amdhsa_user_sgpr_queue_ptr 0
		.amdhsa_user_sgpr_kernarg_segment_ptr 1
		.amdhsa_user_sgpr_dispatch_id 0
		.amdhsa_user_sgpr_kernarg_preload_length 0
		.amdhsa_user_sgpr_kernarg_preload_offset 0
		.amdhsa_user_sgpr_private_segment_size 0
		.amdhsa_wavefront_size32 1
		.amdhsa_uses_dynamic_stack 0
		.amdhsa_enable_private_segment 0
		.amdhsa_system_sgpr_workgroup_id_x 1
		.amdhsa_system_sgpr_workgroup_id_y 0
		.amdhsa_system_sgpr_workgroup_id_z 0
		.amdhsa_system_sgpr_workgroup_info 0
		.amdhsa_system_vgpr_workitem_id 0
		.amdhsa_next_free_vgpr 2
		.amdhsa_next_free_sgpr 7
		.amdhsa_named_barrier_count 0
		.amdhsa_reserve_vcc 0
		.amdhsa_float_round_mode_32 0
		.amdhsa_float_round_mode_16_64 0
		.amdhsa_float_denorm_mode_32 3
		.amdhsa_float_denorm_mode_16_64 3
		.amdhsa_fp16_overflow 0
		.amdhsa_memory_ordered 1
		.amdhsa_forward_progress 1
		.amdhsa_inst_pref_size 2
		.amdhsa_round_robin_scheduling 0
		.amdhsa_exception_fp_ieee_invalid_op 0
		.amdhsa_exception_fp_denorm_src 0
		.amdhsa_exception_fp_ieee_div_zero 0
		.amdhsa_exception_fp_ieee_overflow 0
		.amdhsa_exception_fp_ieee_underflow 0
		.amdhsa_exception_fp_ieee_inexact 0
		.amdhsa_exception_int_div_zero 0
	.end_amdhsa_kernel
	.text
.Lfunc_end0:
	.size	_Z13device_memsetPfi, .Lfunc_end0-_Z13device_memsetPfi
                                        ; -- End function
	.set _Z13device_memsetPfi.num_vgpr, 2
	.set _Z13device_memsetPfi.num_agpr, 0
	.set _Z13device_memsetPfi.numbered_sgpr, 7
	.set _Z13device_memsetPfi.num_named_barrier, 0
	.set _Z13device_memsetPfi.private_seg_size, 0
	.set _Z13device_memsetPfi.uses_vcc, 0
	.set _Z13device_memsetPfi.uses_flat_scratch, 0
	.set _Z13device_memsetPfi.has_dyn_sized_stack, 0
	.set _Z13device_memsetPfi.has_recursion, 0
	.set _Z13device_memsetPfi.has_indirect_call, 0
	.section	.AMDGPU.csdata,"",@progbits
; Kernel info:
; codeLenInByte = 132
; TotalNumSgprs: 7
; NumVgprs: 2
; ScratchSize: 0
; MemoryBound: 0
; FloatMode: 240
; IeeeMode: 1
; LDSByteSize: 0 bytes/workgroup (compile time only)
; SGPRBlocks: 0
; VGPRBlocks: 0
; NumSGPRsForWavesPerEU: 7
; NumVGPRsForWavesPerEU: 2
; NamedBarCnt: 0
; Occupancy: 16
; WaveLimiterHint : 0
; COMPUTE_PGM_RSRC2:SCRATCH_EN: 0
; COMPUTE_PGM_RSRC2:USER_SGPR: 2
; COMPUTE_PGM_RSRC2:TRAP_HANDLER: 0
; COMPUTE_PGM_RSRC2:TGID_X_EN: 1
; COMPUTE_PGM_RSRC2:TGID_Y_EN: 0
; COMPUTE_PGM_RSRC2:TGID_Z_EN: 0
; COMPUTE_PGM_RSRC2:TIDIG_COMP_CNT: 0
	.text
	.protected	_Z11device_cbowiiiiiiiPKiS0_PfS1_Pj ; -- Begin function _Z11device_cbowiiiiiiiPKiS0_PfS1_Pj
	.globl	_Z11device_cbowiiiiiiiPKiS0_PfS1_Pj
	.p2align	8
	.type	_Z11device_cbowiiiiiiiPKiS0_PfS1_Pj,@function
_Z11device_cbowiiiiiiiPKiS0_PfS1_Pj:    ; @_Z11device_cbowiiiiiiiPKiS0_PfS1_Pj
; %bb.0:
	s_load_b32 s2, s[0:1], 0x54
	s_bfe_u32 s3, ttmp6, 0x4000c
	s_and_b32 s4, ttmp6, 15
	s_add_co_i32 s3, s3, 1
	s_getreg_b32 s6, hwreg(HW_REG_IB_STS2, 6, 4)
	s_mul_i32 s3, ttmp9, s3
	v_lshrrev_b32_e32 v5, 7, v0
	s_add_co_i32 s4, s4, s3
	s_wait_kmcnt 0x0
	s_bfe_u32 s5, s2, 0x90007
	s_cmp_eq_u32 s6, 0
	s_cselect_b32 s2, ttmp9, s4
	s_delay_alu instid0(SALU_CYCLE_1) | instskip(SKIP_1) | instid1(VALU_DEP_1)
	v_mad_u32 v2, s2, s5, v5
	s_mov_b32 s2, exec_lo
	v_cmpx_gt_i32_e32 0x400, v2
	s_cbranch_execz .LBB1_93
; %bb.1:
	s_clause 0x1
	s_load_b64 s[24:25], s[0:1], 0x40
	s_load_b128 s[16:19], s[0:1], 0x0
	v_and_b32_e32 v6, 0x7f, v0
	v_ashrrev_i32_e32 v3, 31, v2
	s_wait_kmcnt 0x0
	global_load_b32 v4, v2, s[24:25] scale_offset
	s_cmp_lt_i32 s16, 1
	s_cbranch_scc1 .LBB1_91
; %bb.2:
	v_and_b32_e32 v0, 0x380, v0
	s_mov_b64 s[2:3], src_shared_base
	s_clause 0x1
	s_load_b96 s[20:22], s[0:1], 0x10
	s_load_b256 s[8:15], s[0:1], 0x20
	v_dual_mov_b32 v1, s3 :: v_dual_lshlrev_b32 v30, 2, v6
	v_lshl_add_u32 v31, v0, 2, 0
	v_xad_u32 v7, v6, -1, s17
	s_lshl_b32 s4, s19, 1
	v_cmp_le_i32_e32 vcc_lo, s17, v6
	s_delay_alu instid0(VALU_DEP_3) | instskip(SKIP_3) | instid1(VALU_DEP_3)
	v_dual_mov_b32 v15, v1 :: v_dual_add_nc_u32 v0, v31, v30
	v_dual_mov_b32 v9, s3 :: v_dual_mov_b32 v11, s3
	v_lshrrev_b32_e32 v19, 7, v7
	s_or_b32 s7, s4, 1
	v_dual_mov_b32 v13, s3 :: v_dual_add_nc_u32 v10, 0x80, v0
	s_cvt_f32_u32 s3, s19
	s_delay_alu instid0(VALU_DEP_2)
	v_dual_add_nc_u32 v18, 8, v0 :: v_dual_add_nc_u32 v22, 1, v19
	s_wait_xcnt 0x0
	v_cmp_gt_i32_e64 s0, s17, v6
	v_rcp_iflag_f32_e32 v20, s3
	s_wait_kmcnt 0x0
	s_cvt_f32_u32 s3, s21
	s_cmp_gt_i32 s20, 0
	v_and_b32_e32 v33, 0x3fffffe, v22
	s_cselect_b32 s33, -1, 0
	v_rcp_iflag_f32_e32 v23, s3
	s_add_co_i32 s34, s22, -1
	v_readfirstlane_b32 s4, v20
	s_cvt_f32_u32 s6, s34
	s_lshl_b32 s5, s5, 2
	s_sub_co_i32 s29, 0, s21
	s_sub_co_i32 s22, 1, s22
	s_mul_f32 s4, s4, 0x4f7ffffe
	v_readfirstlane_b32 s26, v23
	v_rcp_iflag_f32_e32 v23, s6
	s_sub_co_i32 s6, 0, s19
	s_cvt_u32_f32 s23, s4
	v_cmp_ne_u32_e64 s4, v22, v33
	v_lshl_add_u32 v22, v5, 2, s5
	v_mul_lo_u32 v5, s18, v5
	s_mul_f32 s26, s26, 0x4f7ffffe
	v_readfirstlane_b32 s28, v23
	v_mov_b32_e32 v21, v1
	v_mul_lo_u32 v22, s18, v22
	s_mul_i32 s6, s6, s23
	v_subrev_nc_u32_e32 v32, s19, v2
	s_mul_f32 s28, s28, 0x4f7ffffe
	s_mul_hi_u32 s5, s23, s6
	s_cvt_u32_f32 s6, s26
	s_add_co_i32 s26, s23, s5
	v_lshlrev_b32_e32 v5, 2, v5
	s_cvt_u32_f32 s5, s28
	s_mul_i32 s29, s29, s6
	v_cmp_gt_u32_e64 s1, 64, v6
	v_add3_u32 v35, v22, 0, 0x200
	v_add3_u32 v36, v5, 0, 0x200
	s_mul_hi_u32 s23, s6, s29
	s_mul_i32 s28, s22, s5
	v_cmp_gt_u32_e64 s2, 32, v6
	v_add_nc_u32_e32 v8, 0x100, v0
	v_dual_add_nc_u32 v12, 64, v0 :: v_dual_add_nc_u32 v14, 32, v0
	v_dual_mov_b32 v17, v1 :: v_dual_add_nc_u32 v16, 16, v0
	v_dual_mov_b32 v19, v1 :: v_dual_add_nc_u32 v20, 4, v0
	v_cmp_lt_u32_e64 s3, 0x7f, v7
	v_lshl_or_b32 v34, v33, 7, v6
	v_or_b32_e32 v7, 0x80, v6
	v_dual_add_nc_u32 v37, v35, v30 :: v_dual_add_nc_u32 v38, v36, v30
	v_mov_b32_e32 v5, 0
	s_mov_b32 s27, 0
	s_add_co_i32 s22, s6, s23
	s_mul_hi_u32 s6, s5, s28
	s_mov_b32 s23, s27
	s_add_co_i32 s28, s5, s6
	s_mov_b32 s29, s27
	s_mov_b32 s35, 0x19660d
	s_xor_b32 s36, vcc_lo, -1
	s_mov_b32 s37, s27
	s_get_pc_i64 s[30:31]
	s_add_nc_u64 s[30:31], s[30:31], expTable@rel64+4
	s_branch .LBB1_5
.LBB1_3:                                ;   in Loop: Header=BB1_5 Depth=1
	s_or_b32 exec_lo, exec_lo, s6
.LBB1_4:                                ;   in Loop: Header=BB1_5 Depth=1
	s_delay_alu instid0(SALU_CYCLE_1) | instskip(SKIP_2) | instid1(SALU_CYCLE_1)
	s_or_b32 exec_lo, exec_lo, s39
	s_wait_xcnt 0x0
	s_add_co_i32 s37, s37, 1
	s_cmp_eq_u32 s37, s16
	s_cbranch_scc1 .LBB1_91
.LBB1_5:                                ; =>This Loop Header: Depth=1
                                        ;     Child Loop BB1_7 Depth 2
                                        ;     Child Loop BB1_13 Depth 2
                                        ;       Child Loop BB1_18 Depth 3
                                        ;       Child Loop BB1_24 Depth 3
                                        ;     Child Loop BB1_30 Depth 2
                                        ;     Child Loop BB1_36 Depth 2
                                        ;     Child Loop BB1_45 Depth 2
                                        ;     Child Loop BB1_59 Depth 2
                                        ;     Child Loop BB1_65 Depth 2
                                        ;     Child Loop BB1_68 Depth 2
                                        ;     Child Loop BB1_74 Depth 2
                                        ;     Child Loop BB1_80 Depth 2
                                        ;       Child Loop BB1_84 Depth 3
                                        ;       Child Loop BB1_90 Depth 3
	s_and_saveexec_b32 s5, s0
	s_cbranch_execz .LBB1_8
; %bb.6:                                ;   in Loop: Header=BB1_5 Depth=1
	v_dual_mov_b32 v22, v38 :: v_dual_mov_b32 v23, v37
	v_mov_b32_e32 v24, v6
	s_mov_b32 s6, 0
.LBB1_7:                                ;   Parent Loop BB1_5 Depth=1
                                        ; =>  This Inner Loop Header: Depth=2
	s_delay_alu instid0(VALU_DEP_1)
	v_add_nc_u32_e32 v24, 0x80, v24
	ds_store_b32 v22, v5
	ds_store_b32 v23, v5
	v_add_nc_u32_e32 v23, 0x200, v23
	v_add_nc_u32_e32 v22, 0x200, v22
	v_cmp_le_i32_e32 vcc_lo, s17, v24
	s_or_b32 s6, vcc_lo, s6
	s_delay_alu instid0(SALU_CYCLE_1)
	s_and_not1_b32 exec_lo, exec_lo, s6
	s_cbranch_execnz .LBB1_7
.LBB1_8:                                ;   in Loop: Header=BB1_5 Depth=1
	s_or_b32 exec_lo, exec_lo, s5
	s_lshl_b32 s38, s37, 10
	s_wait_loadcnt 0x0
	v_mad_u32 v4, v4, s35, 0x3c6ef35f
	v_dual_add_nc_u32 v22, s38, v2 :: v_dual_mov_b32 v26, 0
	global_load_b32 v41, v22, s[8:9] scale_offset
	s_wait_xcnt 0x0
	v_mul_u64_e32 v[22:23], s[26:27], v[4:5]
	s_delay_alu instid0(VALU_DEP_1) | instskip(NEXT) | instid1(VALU_DEP_1)
	v_mul_lo_u32 v22, v23, s19
	v_sub_nc_u32_e32 v22, v4, v22
	s_delay_alu instid0(VALU_DEP_1) | instskip(SKIP_1) | instid1(VALU_DEP_2)
	v_subrev_nc_u32_e32 v23, s19, v22
	v_cmp_le_u32_e32 vcc_lo, s19, v22
	v_cndmask_b32_e32 v22, v22, v23, vcc_lo
	s_delay_alu instid0(VALU_DEP_1) | instskip(SKIP_1) | instid1(VALU_DEP_2)
	v_subrev_nc_u32_e32 v23, s19, v22
	v_cmp_le_u32_e32 vcc_lo, s19, v22
	v_cndmask_b32_e32 v39, v22, v23, vcc_lo
	s_delay_alu instid0(VALU_DEP_1) | instskip(NEXT) | instid1(VALU_DEP_1)
	v_sub_nc_u32_e32 v40, s7, v39
	v_cmp_lt_i32_e64 s5, v39, v40
	s_and_saveexec_b32 s6, s5
	s_cbranch_execz .LBB1_26
; %bb.9:                                ;   in Loop: Header=BB1_5 Depth=1
	v_dual_mov_b32 v26, 0 :: v_dual_mov_b32 v27, v39
	s_mov_b32 s39, 0
	s_branch .LBB1_13
.LBB1_10:                               ;   in Loop: Header=BB1_13 Depth=2
	s_or_b32 exec_lo, exec_lo, s42
	v_add_nc_u32_e32 v26, 1, v26
.LBB1_11:                               ;   in Loop: Header=BB1_13 Depth=2
	s_or_b32 exec_lo, exec_lo, s41
.LBB1_12:                               ;   in Loop: Header=BB1_13 Depth=2
	s_delay_alu instid0(SALU_CYCLE_1) | instskip(SKIP_1) | instid1(VALU_DEP_1)
	s_or_b32 exec_lo, exec_lo, s40
	v_add_nc_u32_e32 v27, 1, v27
	v_cmp_ge_i32_e32 vcc_lo, v27, v40
	s_or_b32 s39, vcc_lo, s39
	s_delay_alu instid0(SALU_CYCLE_1)
	s_and_not1_b32 exec_lo, exec_lo, s39
	s_cbranch_execz .LBB1_25
.LBB1_13:                               ;   Parent Loop BB1_5 Depth=1
                                        ; =>  This Loop Header: Depth=2
                                        ;       Child Loop BB1_18 Depth 3
                                        ;       Child Loop BB1_24 Depth 3
	s_mov_b32 s40, exec_lo
	s_delay_alu instid0(VALU_DEP_1)
	v_cmpx_ne_u32_e64 s19, v27
	s_cbranch_execz .LBB1_12
; %bb.14:                               ;   in Loop: Header=BB1_13 Depth=2
	v_add_nc_u32_e32 v22, v27, v32
	s_mov_b32 s41, exec_lo
	s_delay_alu instid0(VALU_DEP_1)
	v_cmpx_gt_u32_e32 0x400, v22
	s_cbranch_execz .LBB1_11
; %bb.15:                               ;   in Loop: Header=BB1_13 Depth=2
	s_and_saveexec_b32 s42, s0
	s_cbranch_execz .LBB1_10
; %bb.16:                               ;   in Loop: Header=BB1_13 Depth=2
	v_dual_mov_b32 v24, v6 :: v_dual_bitop2_b32 v22, s38, v22 bitop3:0x54
	v_mov_b32_e32 v28, v30
	s_mov_b32 s44, -1
	global_load_b32 v22, v22, s[8:9] scale_offset
	s_wait_loadcnt 0x0
	s_wait_xcnt 0x0
	v_mul_lo_u32 v22, v22, s18
	s_and_saveexec_b32 s43, s3
	s_cbranch_execz .LBB1_22
; %bb.17:                               ;   in Loop: Header=BB1_13 Depth=2
	v_mov_b64_e32 v[24:25], v[6:7]
	s_delay_alu instid0(VALU_DEP_2)
	v_dual_mov_b32 v23, v22 :: v_dual_mov_b32 v28, v33
	v_mov_b32_e32 v29, v38
	s_mov_b32 s44, 0
.LBB1_18:                               ;   Parent Loop BB1_5 Depth=1
                                        ;     Parent Loop BB1_13 Depth=2
                                        ; =>    This Inner Loop Header: Depth=3
	s_delay_alu instid0(VALU_DEP_2) | instskip(NEXT) | instid1(VALU_DEP_3)
	v_dual_add_nc_u32 v44, v24, v22 :: v_dual_add_nc_u32 v45, v25, v23
	v_add_nc_u32_e32 v28, -2, v28
	v_add_nc_u32_e32 v25, 0x100, v25
	v_add_nc_u32_e32 v24, 0x100, v24
	s_clause 0x1
	global_load_b32 v42, v44, s[12:13] scale_offset
	global_load_b32 v43, v45, s[12:13] scale_offset
	s_wait_xcnt 0x0
	ds_load_2addr_stride64_b32 v[44:45], v29 offset1:2
	v_cmp_eq_u32_e32 vcc_lo, 0, v28
	s_or_b32 s44, vcc_lo, s44
	s_wait_loadcnt_dscnt 0x0
	v_pk_add_f32 v[42:43], v[42:43], v[44:45]
	ds_store_2addr_stride64_b32 v29, v42, v43 offset1:2
	v_add_nc_u32_e32 v29, 0x400, v29
	s_and_not1_b32 exec_lo, exec_lo, s44
	s_cbranch_execnz .LBB1_18
; %bb.19:                               ;   in Loop: Header=BB1_13 Depth=2
	s_or_b32 exec_lo, exec_lo, s44
	s_mov_b32 s44, 0
                                        ; implicit-def: $vgpr28
	s_and_saveexec_b32 s45, s4
; %bb.20:                               ;   in Loop: Header=BB1_13 Depth=2
	v_lshlrev_b32_e32 v28, 2, v34
	s_mov_b32 s44, exec_lo
; %bb.21:                               ;   in Loop: Header=BB1_13 Depth=2
	s_or_b32 exec_lo, exec_lo, s45
	v_mov_b32_e32 v24, v34
	s_or_not1_b32 s44, s44, exec_lo
.LBB1_22:                               ;   in Loop: Header=BB1_13 Depth=2
	s_or_b32 exec_lo, exec_lo, s43
	s_delay_alu instid0(SALU_CYCLE_1)
	s_and_b32 exec_lo, exec_lo, s44
	s_cbranch_execz .LBB1_10
; %bb.23:                               ;   in Loop: Header=BB1_13 Depth=2
	s_delay_alu instid0(VALU_DEP_1) | instskip(SKIP_1) | instid1(VALU_DEP_1)
	v_dual_ashrrev_i32 v25, 31, v24 :: v_dual_ashrrev_i32 v23, 31, v22
	s_mov_b32 s43, 0
	v_add_nc_u64_e32 v[22:23], v[24:25], v[22:23]
	v_add_nc_u32_e32 v25, v36, v28
	s_delay_alu instid0(VALU_DEP_2)
	v_lshl_add_u64 v[22:23], v[22:23], 2, s[12:13]
.LBB1_24:                               ;   Parent Loop BB1_5 Depth=1
                                        ;     Parent Loop BB1_13 Depth=2
                                        ; =>    This Inner Loop Header: Depth=3
	global_load_b32 v28, v[22:23], off
	ds_load_b32 v29, v25
	v_add_nc_u32_e32 v24, 0x80, v24
	s_wait_xcnt 0x0
	v_add_nc_u64_e32 v[22:23], 0x200, v[22:23]
	s_delay_alu instid0(VALU_DEP_2)
	v_cmp_le_i32_e32 vcc_lo, s17, v24
	s_or_b32 s43, vcc_lo, s43
	s_wait_loadcnt_dscnt 0x0
	v_add_f32_e32 v28, v28, v29
	ds_store_b32 v25, v28
	v_add_nc_u32_e32 v25, 0x200, v25
	s_and_not1_b32 exec_lo, exec_lo, s43
	s_cbranch_execnz .LBB1_24
	s_branch .LBB1_10
.LBB1_25:                               ;   in Loop: Header=BB1_5 Depth=1
	s_or_b32 exec_lo, exec_lo, s39
.LBB1_26:                               ;   in Loop: Header=BB1_5 Depth=1
	s_delay_alu instid0(SALU_CYCLE_1) | instskip(NEXT) | instid1(SALU_CYCLE_1)
	s_or_b32 exec_lo, exec_lo, s6
	s_mov_b32 s39, exec_lo
	v_cmpx_ne_u32_e32 0, v26
	s_cbranch_execz .LBB1_4
; %bb.27:                               ;   in Loop: Header=BB1_5 Depth=1
	s_and_saveexec_b32 s40, s0
	s_cbranch_execz .LBB1_37
; %bb.28:                               ;   in Loop: Header=BB1_5 Depth=1
	v_cvt_f32_i32_e32 v22, v26
	v_dual_mov_b32 v23, v6 :: v_dual_mov_b32 v24, v30
	s_mov_b32 s6, -1
	s_and_saveexec_b32 s41, s3
	s_cbranch_execz .LBB1_34
; %bb.29:                               ;   in Loop: Header=BB1_5 Depth=1
	v_dual_mov_b32 v23, v22 :: v_dual_mov_b32 v24, v33
	v_mov_b32_e32 v25, v38
	s_mov_b32 s42, 0
.LBB1_30:                               ;   Parent Loop BB1_5 Depth=1
                                        ; =>  This Inner Loop Header: Depth=2
	ds_load_2addr_stride64_b32 v[26:27], v25 offset1:2
	v_add_nc_u32_e32 v24, -2, v24
	s_wait_dscnt 0x0
	v_div_scale_f32 v28, null, v23, v23, v27
	v_div_scale_f32 v29, null, v22, v22, v26
	v_div_scale_f32 v46, vcc_lo, v27, v23, v27
	s_delay_alu instid0(VALU_DEP_3) | instskip(NEXT) | instid1(VALU_DEP_2)
	v_rcp_f32_e32 v42, v28
	v_rcp_f32_e32 v43, v29
	s_delay_alu instid0(TRANS32_DEP_2) | instskip(NEXT) | instid1(TRANS32_DEP_1)
	v_fma_f32 v44, -v28, v42, 1.0
	v_fma_f32 v45, -v29, v43, 1.0
	s_delay_alu instid0(VALU_DEP_1) | instskip(SKIP_1) | instid1(VALU_DEP_1)
	v_dual_fmac_f32 v42, v44, v42 :: v_dual_fmac_f32 v43, v45, v43
	v_div_scale_f32 v44, s6, v26, v22, v26
	v_dual_mul_f32 v45, v46, v42 :: v_dual_mul_f32 v47, v44, v43
	s_delay_alu instid0(VALU_DEP_1) | instskip(NEXT) | instid1(VALU_DEP_1)
	v_dual_fma_f32 v48, -v28, v45, v46 :: v_dual_fma_f32 v49, -v29, v47, v44
	v_dual_fmac_f32 v45, v48, v42 :: v_dual_fmac_f32 v47, v49, v43
	s_delay_alu instid0(VALU_DEP_1) | instskip(NEXT) | instid1(VALU_DEP_1)
	v_dual_fma_f32 v28, -v28, v45, v46 :: v_dual_fma_f32 v29, -v29, v47, v44
	v_div_fmas_f32 v28, v28, v42, v45
	s_mov_b32 vcc_lo, s6
	s_delay_alu instid0(VALU_DEP_2) | instskip(SKIP_1) | instid1(VALU_DEP_3)
	v_div_fmas_f32 v29, v29, v43, v47
	v_cmp_eq_u32_e32 vcc_lo, 0, v24
	v_div_fixup_f32 v27, v28, v23, v27
	s_delay_alu instid0(VALU_DEP_3)
	v_div_fixup_f32 v26, v29, v22, v26
	s_or_b32 s42, vcc_lo, s42
	ds_store_2addr_stride64_b32 v25, v26, v27 offset1:2
	v_add_nc_u32_e32 v25, 0x400, v25
	s_and_not1_b32 exec_lo, exec_lo, s42
	s_cbranch_execnz .LBB1_30
; %bb.31:                               ;   in Loop: Header=BB1_5 Depth=1
	s_or_b32 exec_lo, exec_lo, s42
	s_mov_b32 s6, 0
                                        ; implicit-def: $vgpr24
	s_and_saveexec_b32 s42, s4
; %bb.32:                               ;   in Loop: Header=BB1_5 Depth=1
	v_lshlrev_b32_e32 v24, 2, v34
	s_mov_b32 s6, exec_lo
; %bb.33:                               ;   in Loop: Header=BB1_5 Depth=1
	s_or_b32 exec_lo, exec_lo, s42
	v_mov_b32_e32 v23, v34
	s_or_not1_b32 s6, s6, exec_lo
.LBB1_34:                               ;   in Loop: Header=BB1_5 Depth=1
	s_or_b32 exec_lo, exec_lo, s41
	s_delay_alu instid0(SALU_CYCLE_1)
	s_and_b32 exec_lo, exec_lo, s6
	s_cbranch_execz .LBB1_37
; %bb.35:                               ;   in Loop: Header=BB1_5 Depth=1
	v_add_nc_u32_e32 v24, v36, v24
	s_mov_b32 s6, 0
.LBB1_36:                               ;   Parent Loop BB1_5 Depth=1
                                        ; =>  This Inner Loop Header: Depth=2
	ds_load_b32 v25, v24
	v_add_nc_u32_e32 v23, 0x80, v23
	s_wait_dscnt 0x0
	v_div_scale_f32 v26, null, v22, v22, v25
	v_div_scale_f32 v29, vcc_lo, v25, v22, v25
	s_delay_alu instid0(VALU_DEP_2) | instskip(SKIP_1) | instid1(TRANS32_DEP_1)
	v_rcp_f32_e32 v27, v26
	v_nop
	v_fma_f32 v28, -v26, v27, 1.0
	s_delay_alu instid0(VALU_DEP_1) | instskip(NEXT) | instid1(VALU_DEP_1)
	v_fmac_f32_e32 v27, v28, v27
	v_mul_f32_e32 v28, v29, v27
	s_delay_alu instid0(VALU_DEP_1) | instskip(NEXT) | instid1(VALU_DEP_1)
	v_fma_f32 v42, -v26, v28, v29
	v_fmac_f32_e32 v28, v42, v27
	s_delay_alu instid0(VALU_DEP_1) | instskip(NEXT) | instid1(VALU_DEP_1)
	v_fma_f32 v26, -v26, v28, v29
	v_div_fmas_f32 v26, v26, v27, v28
	v_cmp_le_i32_e32 vcc_lo, s17, v23
	s_delay_alu instid0(VALU_DEP_2)
	v_div_fixup_f32 v25, v26, v22, v25
	s_or_b32 s6, vcc_lo, s6
	ds_store_b32 v24, v25
	v_add_nc_u32_e32 v24, 0x200, v24
	s_and_not1_b32 exec_lo, exec_lo, s6
	s_cbranch_execnz .LBB1_36
.LBB1_37:                               ;   in Loop: Header=BB1_5 Depth=1
	s_or_b32 exec_lo, exec_lo, s40
	s_delay_alu instid0(SALU_CYCLE_1)
	s_and_not1_b32 vcc_lo, exec_lo, s33
	s_cbranch_vccnz .LBB1_77
; %bb.38:                               ;   in Loop: Header=BB1_5 Depth=1
	s_load_b32 s6, s[8:9], s37 offset:0x6000 scale_offset
	s_mov_b32 s40, 0
	s_delay_alu instid0(SALU_CYCLE_1)
	s_cmp_eq_u32 s40, 0
	s_cbranch_scc1 .LBB1_42
.LBB1_39:                               ;   in Loop: Header=BB1_5 Depth=1
	v_mad_u32 v4, v4, s35, 0x3c6ef35f
	s_mov_b32 s41, exec_lo
	s_delay_alu instid0(VALU_DEP_1) | instskip(NEXT) | instid1(VALU_DEP_1)
	v_mul_u64_e32 v[22:23], s[22:23], v[4:5]
	v_mul_lo_u32 v22, v23, s21
	s_delay_alu instid0(VALU_DEP_1) | instskip(NEXT) | instid1(VALU_DEP_1)
	v_sub_nc_u32_e32 v22, v4, v22
	v_subrev_nc_u32_e32 v23, s21, v22
	v_cmp_le_u32_e32 vcc_lo, s21, v22
	s_delay_alu instid0(VALU_DEP_2) | instskip(NEXT) | instid1(VALU_DEP_1)
	v_cndmask_b32_e32 v22, v22, v23, vcc_lo
	v_subrev_nc_u32_e32 v23, s21, v22
	v_cmp_le_u32_e32 vcc_lo, s21, v22
	s_delay_alu instid0(VALU_DEP_2)
	v_cndmask_b32_e32 v22, v22, v23, vcc_lo
	global_load_b32 v22, v22, s[10:11] scale_offset
	s_wait_loadcnt 0x0
	s_wait_xcnt 0x0
	v_cmpx_eq_u32_e32 0, v22
	s_cbranch_execz .LBB1_41
; %bb.40:                               ;   in Loop: Header=BB1_5 Depth=1
	v_mul_u64_e32 v[22:23], s[28:29], v[4:5]
	s_delay_alu instid0(VALU_DEP_1) | instskip(NEXT) | instid1(VALU_DEP_1)
	v_mul_lo_u32 v22, v23, s34
	v_sub_nc_u32_e32 v22, v4, v22
	s_delay_alu instid0(VALU_DEP_1) | instskip(SKIP_1) | instid1(VALU_DEP_2)
	v_subrev_nc_u32_e32 v23, s34, v22
	v_cmp_le_u32_e32 vcc_lo, s34, v22
	v_cndmask_b32_e32 v22, v22, v23, vcc_lo
	s_delay_alu instid0(VALU_DEP_1) | instskip(SKIP_1) | instid1(VALU_DEP_2)
	v_subrev_nc_u32_e32 v23, s34, v22
	v_cmp_le_u32_e32 vcc_lo, s34, v22
	v_cndmask_b32_e32 v22, v22, v23, vcc_lo
	s_delay_alu instid0(VALU_DEP_1)
	v_add_nc_u32_e32 v22, 1, v22
.LBB1_41:                               ;   in Loop: Header=BB1_5 Depth=1
	s_or_b32 exec_lo, exec_lo, s41
	s_delay_alu instid0(VALU_DEP_1)
	v_cmp_ne_u32_e64 s43, v22, v41
	s_mov_b32 s42, 0
	s_and_saveexec_b32 s41, s43
	s_cbranch_execnz .LBB1_43
	s_branch .LBB1_75
.LBB1_42:                               ;   in Loop: Header=BB1_5 Depth=1
	s_wait_loadcnt 0x0
	v_mov_b32_e32 v22, v41
	s_mov_b32 s43, -1
	s_mov_b32 s42, 1
	s_and_saveexec_b32 s41, s43
	s_cbranch_execz .LBB1_75
.LBB1_43:                               ;   in Loop: Header=BB1_5 Depth=1
	v_mul_lo_u32 v22, v22, s18
	ds_store_b32 v0, v5
	s_and_saveexec_b32 s43, s0
	s_cbranch_execz .LBB1_46
; %bb.44:                               ;   in Loop: Header=BB1_5 Depth=1
	v_dual_mov_b32 v23, 0 :: v_dual_add_nc_u32 v24, v6, v22
	v_mov_b32_e32 v27, v6
	s_mov_b32 s44, 0
	s_delay_alu instid0(VALU_DEP_2) | instskip(NEXT) | instid1(VALU_DEP_1)
	v_dual_mov_b32 v26, v38 :: v_dual_ashrrev_i32 v25, 31, v24
	v_lshl_add_u64 v[24:25], v[24:25], 2, s[14:15]
.LBB1_45:                               ;   Parent Loop BB1_5 Depth=1
                                        ; =>  This Inner Loop Header: Depth=2
	global_load_b32 v28, v[24:25], off
	ds_load_b32 v29, v26
	v_add_nc_u32_e32 v27, 0x80, v27
	s_wait_xcnt 0x0
	v_add_nc_u64_e32 v[24:25], 0x200, v[24:25]
	v_add_nc_u32_e32 v26, 0x200, v26
	s_delay_alu instid0(VALU_DEP_3)
	v_cmp_le_i32_e32 vcc_lo, s17, v27
	s_or_b32 s44, vcc_lo, s44
	s_wait_loadcnt_dscnt 0x0
	v_fmac_f32_e32 v23, v29, v28
	ds_store_b32 v0, v23
	s_and_not1_b32 exec_lo, exec_lo, s44
	s_cbranch_execnz .LBB1_45
.LBB1_46:                               ;   in Loop: Header=BB1_5 Depth=1
	s_or_b32 exec_lo, exec_lo, s43
	s_wait_dscnt 0x0
	s_barrier_signal -1
	s_barrier_wait -1
	s_and_saveexec_b32 s43, s1
	s_cbranch_execz .LBB1_48
; %bb.47:                               ;   in Loop: Header=BB1_5 Depth=1
	flat_load_b32 v23, v[8:9] scope:SCOPE_SYS
	s_wait_loadcnt 0x0
	flat_load_b32 v24, v[0:1] scope:SCOPE_SYS
	s_wait_loadcnt_dscnt 0x0
	v_add_f32_e32 v23, v23, v24
	flat_store_b32 v[0:1], v23 scope:SCOPE_SYS
	s_wait_storecnt 0x0
.LBB1_48:                               ;   in Loop: Header=BB1_5 Depth=1
	s_wait_xcnt 0x0
	s_or_b32 exec_lo, exec_lo, s43
	s_wait_dscnt 0x0
	s_barrier_signal -1
	s_barrier_wait -1
	s_and_saveexec_b32 s43, s2
	s_cbranch_execz .LBB1_50
; %bb.49:                               ;   in Loop: Header=BB1_5 Depth=1
	flat_load_b32 v23, v[10:11] scope:SCOPE_SYS
	s_wait_loadcnt 0x0
	flat_load_b32 v24, v[0:1] scope:SCOPE_SYS
	s_wait_loadcnt_dscnt 0x0
	v_add_f32_e32 v23, v23, v24
	flat_store_b32 v[0:1], v23 scope:SCOPE_SYS
	s_wait_storecnt 0x0
	flat_load_b32 v23, v[12:13] scope:SCOPE_SYS
	s_wait_loadcnt 0x0
	flat_load_b32 v24, v[0:1] scope:SCOPE_SYS
	s_wait_loadcnt_dscnt 0x0
	v_add_f32_e32 v23, v23, v24
	flat_store_b32 v[0:1], v23 scope:SCOPE_SYS
	s_wait_storecnt 0x0
	;; [unrolled: 7-line block ×6, first 2 shown]
.LBB1_50:                               ;   in Loop: Header=BB1_5 Depth=1
	s_wait_xcnt 0x0
	s_or_b32 exec_lo, exec_lo, s43
	s_wait_dscnt 0x0
	s_barrier_signal -1
	s_barrier_wait -1
	ds_load_b32 v24, v31
	s_mov_b32 s43, exec_lo
                                        ; implicit-def: $vgpr23
	s_wait_dscnt 0x0
	v_cmpx_nlt_f32_e32 0x40c00000, v24
	s_xor_b32 s43, exec_lo, s43
	s_cbranch_execnz .LBB1_53
; %bb.51:                               ;   in Loop: Header=BB1_5 Depth=1
	s_and_not1_saveexec_b32 s43, s43
	s_cbranch_execnz .LBB1_56
.LBB1_52:                               ;   in Loop: Header=BB1_5 Depth=1
	s_or_b32 exec_lo, exec_lo, s43
	s_delay_alu instid0(SALU_CYCLE_1)
	s_and_b32 exec_lo, exec_lo, s0
	s_cbranch_execnz .LBB1_57
	s_branch .LBB1_75
.LBB1_53:                               ;   in Loop: Header=BB1_5 Depth=1
	v_cvt_f32_ubyte0_e32 v23, s42
	s_mov_b32 s44, exec_lo
	v_cmpx_ngt_f32_e32 0xc0c00000, v24
	s_cbranch_execz .LBB1_55
; %bb.54:                               ;   in Loop: Header=BB1_5 Depth=1
	v_add_f32_e32 v24, 0x40c00000, v24
	s_delay_alu instid0(VALU_DEP_1) | instskip(NEXT) | instid1(VALU_DEP_1)
	v_mul_f32_e32 v24, 0x42a60000, v24
	v_cvt_i32_f32_e32 v24, v24
	global_load_b32 v24, v24, s[30:31] scale_offset
	s_wait_loadcnt 0x0
	v_sub_f32_e32 v23, v23, v24
.LBB1_55:                               ;   in Loop: Header=BB1_5 Depth=1
	s_wait_xcnt 0x0
	s_or_b32 exec_lo, exec_lo, s44
	s_and_not1_saveexec_b32 s43, s43
	s_cbranch_execz .LBB1_52
.LBB1_56:                               ;   in Loop: Header=BB1_5 Depth=1
	s_add_co_i32 s42, s42, -1
	s_delay_alu instid0(SALU_CYCLE_1) | instskip(NEXT) | instid1(SALU_CYCLE_3)
	s_cvt_f32_i32 s42, s42
	v_mov_b32_e32 v23, s42
	s_or_b32 exec_lo, exec_lo, s43
	s_delay_alu instid0(SALU_CYCLE_1)
	s_and_b32 exec_lo, exec_lo, s0
	s_cbranch_execz .LBB1_75
.LBB1_57:                               ;   in Loop: Header=BB1_5 Depth=1
	s_wait_kmcnt 0x0
	v_dual_mul_f32 v24, s6, v23 :: v_dual_mov_b32 v26, v6
	v_mov_b32_e32 v25, v30
	s_mov_b32 s43, -1
	s_and_saveexec_b32 s42, s3
	s_cbranch_execz .LBB1_63
; %bb.58:                               ;   in Loop: Header=BB1_5 Depth=1
	v_mov_b64_e32 v[26:27], v[6:7]
	v_dual_mov_b32 v23, v22 :: v_dual_mov_b32 v25, v24
	v_dual_mov_b32 v28, v33 :: v_dual_mov_b32 v29, v37
	s_mov_b32 s43, 0
.LBB1_59:                               ;   Parent Loop BB1_5 Depth=1
                                        ; =>  This Inner Loop Header: Depth=2
	s_delay_alu instid0(VALU_DEP_2) | instskip(NEXT) | instid1(VALU_DEP_2)
	v_dual_add_nc_u32 v44, v26, v22 :: v_dual_add_nc_u32 v45, v27, v23
	v_add_nc_u32_e32 v28, -2, v28
	v_add_nc_u32_e32 v27, 0x100, v27
	v_add_nc_u32_e32 v26, 0x100, v26
	s_clause 0x1
	global_load_b32 v42, v44, s[14:15] scale_offset
	global_load_b32 v43, v45, s[14:15] scale_offset
	s_wait_xcnt 0x0
	ds_load_2addr_stride64_b32 v[44:45], v29 offset1:2
	v_cmp_eq_u32_e32 vcc_lo, 0, v28
	s_or_b32 s43, vcc_lo, s43
	s_wait_loadcnt_dscnt 0x0
	v_pk_fma_f32 v[42:43], v[24:25], v[42:43], v[44:45]
	ds_store_2addr_stride64_b32 v29, v42, v43 offset1:2
	v_add_nc_u32_e32 v29, 0x400, v29
	s_and_not1_b32 exec_lo, exec_lo, s43
	s_cbranch_execnz .LBB1_59
; %bb.60:                               ;   in Loop: Header=BB1_5 Depth=1
	s_or_b32 exec_lo, exec_lo, s43
	s_mov_b32 s43, 0
                                        ; implicit-def: $vgpr25
	s_and_saveexec_b32 s44, s4
; %bb.61:                               ;   in Loop: Header=BB1_5 Depth=1
	v_lshlrev_b32_e32 v25, 2, v34
	s_mov_b32 s43, exec_lo
; %bb.62:                               ;   in Loop: Header=BB1_5 Depth=1
	s_or_b32 exec_lo, exec_lo, s44
	v_mov_b32_e32 v26, v34
	s_or_not1_b32 s43, s43, exec_lo
.LBB1_63:                               ;   in Loop: Header=BB1_5 Depth=1
	s_or_b32 exec_lo, exec_lo, s42
	v_ashrrev_i32_e32 v42, 31, v22
	s_and_saveexec_b32 s42, s43
	s_cbranch_execz .LBB1_66
; %bb.64:                               ;   in Loop: Header=BB1_5 Depth=1
	s_delay_alu instid0(VALU_DEP_1) | instskip(SKIP_1) | instid1(VALU_DEP_1)
	v_dual_ashrrev_i32 v27, 31, v26 :: v_dual_mov_b32 v23, v42
	s_mov_b32 s43, 0
	v_add_nc_u64_e32 v[28:29], v[26:27], v[22:23]
	v_add_nc_u32_e32 v23, v35, v25
	s_delay_alu instid0(VALU_DEP_2)
	v_lshl_add_u64 v[28:29], v[28:29], 2, s[14:15]
.LBB1_65:                               ;   Parent Loop BB1_5 Depth=1
                                        ; =>  This Inner Loop Header: Depth=2
	global_load_b32 v25, v[28:29], off
	ds_load_b32 v27, v23
	v_add_nc_u32_e32 v26, 0x80, v26
	s_wait_xcnt 0x0
	v_add_nc_u64_e32 v[28:29], 0x200, v[28:29]
	s_wait_loadcnt_dscnt 0x0
	v_fmac_f32_e32 v27, v24, v25
	v_cmp_le_i32_e32 vcc_lo, s17, v26
	ds_store_b32 v23, v27
	v_add_nc_u32_e32 v23, 0x200, v23
	s_or_b32 s43, vcc_lo, s43
	s_delay_alu instid0(SALU_CYCLE_1)
	s_and_not1_b32 exec_lo, exec_lo, s43
	s_cbranch_execnz .LBB1_65
.LBB1_66:                               ;   in Loop: Header=BB1_5 Depth=1
	s_or_b32 exec_lo, exec_lo, s42
	v_dual_mov_b32 v26, v6 :: v_dual_mov_b32 v25, v30
	s_mov_b32 s43, -1
	s_and_saveexec_b32 s42, s3
	s_cbranch_execz .LBB1_72
; %bb.67:                               ;   in Loop: Header=BB1_5 Depth=1
	v_mov_b64_e32 v[26:27], v[6:7]
	v_dual_mov_b32 v25, v24 :: v_dual_mov_b32 v23, v22
	v_dual_mov_b32 v28, v33 :: v_dual_mov_b32 v29, v38
	s_mov_b32 s43, 0
.LBB1_68:                               ;   Parent Loop BB1_5 Depth=1
                                        ; =>  This Inner Loop Header: Depth=2
	s_delay_alu instid0(VALU_DEP_2) | instskip(NEXT) | instid1(VALU_DEP_2)
	v_dual_add_nc_u32 v43, v26, v22 :: v_dual_add_nc_u32 v48, v27, v23
	v_add_nc_u32_e32 v28, -2, v28
	v_add_nc_u32_e32 v27, 0x100, v27
	v_add_nc_u32_e32 v26, 0x100, v26
	s_clause 0x1
	global_load_b32 v44, v43, s[14:15] scale_offset
	global_load_b32 v45, v48, s[14:15] scale_offset
	ds_load_2addr_stride64_b32 v[46:47], v29 offset1:2
	v_cmp_eq_u32_e32 vcc_lo, 0, v28
	v_add_nc_u32_e32 v29, 0x400, v29
	s_or_b32 s43, vcc_lo, s43
	s_wait_loadcnt_dscnt 0x0
	v_pk_fma_f32 v[44:45], v[24:25], v[46:47], v[44:45]
	s_clause 0x1
	global_store_b32 v43, v44, s[14:15] scale_offset
	global_store_b32 v48, v45, s[14:15] scale_offset
	s_wait_xcnt 0x0
	s_and_not1_b32 exec_lo, exec_lo, s43
	s_cbranch_execnz .LBB1_68
; %bb.69:                               ;   in Loop: Header=BB1_5 Depth=1
	s_or_b32 exec_lo, exec_lo, s43
	s_mov_b32 s43, 0
                                        ; implicit-def: $vgpr25
	s_and_saveexec_b32 s44, s4
; %bb.70:                               ;   in Loop: Header=BB1_5 Depth=1
	v_lshlrev_b32_e32 v25, 2, v34
	s_mov_b32 s43, exec_lo
; %bb.71:                               ;   in Loop: Header=BB1_5 Depth=1
	s_or_b32 exec_lo, exec_lo, s44
	v_mov_b32_e32 v26, v34
	s_or_not1_b32 s43, s43, exec_lo
.LBB1_72:                               ;   in Loop: Header=BB1_5 Depth=1
	s_or_b32 exec_lo, exec_lo, s42
	s_delay_alu instid0(SALU_CYCLE_1)
	s_and_b32 exec_lo, exec_lo, s43
	s_cbranch_execz .LBB1_75
; %bb.73:                               ;   in Loop: Header=BB1_5 Depth=1
	v_dual_ashrrev_i32 v27, 31, v26 :: v_dual_mov_b32 v23, v42
	v_add_nc_u32_e32 v25, v36, v25
	s_mov_b32 s42, 0
	s_delay_alu instid0(VALU_DEP_2) | instskip(NEXT) | instid1(VALU_DEP_1)
	v_add_nc_u64_e32 v[22:23], v[26:27], v[22:23]
	v_lshl_add_u64 v[22:23], v[22:23], 2, s[14:15]
.LBB1_74:                               ;   Parent Loop BB1_5 Depth=1
                                        ; =>  This Inner Loop Header: Depth=2
	global_load_b32 v27, v[22:23], off
	ds_load_b32 v28, v25
	v_add_nc_u32_e32 v26, 0x80, v26
	v_add_nc_u32_e32 v25, 0x200, v25
	s_wait_loadcnt_dscnt 0x0
	v_fmac_f32_e32 v27, v24, v28
	s_delay_alu instid0(VALU_DEP_3) | instskip(SKIP_4) | instid1(SALU_CYCLE_1)
	v_cmp_le_i32_e32 vcc_lo, s17, v26
	global_store_b32 v[22:23], v27, off
	s_wait_xcnt 0x0
	v_add_nc_u64_e32 v[22:23], 0x200, v[22:23]
	s_or_b32 s42, vcc_lo, s42
	s_and_not1_b32 exec_lo, exec_lo, s42
	s_cbranch_execnz .LBB1_74
.LBB1_75:                               ;   in Loop: Header=BB1_5 Depth=1
	s_or_b32 exec_lo, exec_lo, s41
	s_add_co_i32 s41, s40, 1
	s_cmp_lg_u32 s40, s20
	s_cbranch_scc0 .LBB1_77
; %bb.76:                               ;   in Loop: Header=BB1_5 Depth=1
	s_mov_b32 s40, s41
	s_delay_alu instid0(SALU_CYCLE_1)
	s_cmp_eq_u32 s40, 0
	s_cbranch_scc0 .LBB1_39
	s_branch .LBB1_42
.LBB1_77:                               ;   in Loop: Header=BB1_5 Depth=1
	s_wait_kmcnt 0x0
	s_and_saveexec_b32 s6, s5
	s_cbranch_execz .LBB1_3
; %bb.78:                               ;   in Loop: Header=BB1_5 Depth=1
	s_mov_b32 s5, 0
	s_branch .LBB1_80
.LBB1_79:                               ;   in Loop: Header=BB1_80 Depth=2
	s_or_b32 exec_lo, exec_lo, s40
	v_add_nc_u32_e32 v39, 1, v39
	s_delay_alu instid0(VALU_DEP_1) | instskip(SKIP_1) | instid1(SALU_CYCLE_1)
	v_cmp_ge_i32_e32 vcc_lo, v39, v40
	s_or_b32 s5, vcc_lo, s5
	s_and_not1_b32 exec_lo, exec_lo, s5
	s_cbranch_execz .LBB1_3
.LBB1_80:                               ;   Parent Loop BB1_5 Depth=1
                                        ; =>  This Loop Header: Depth=2
                                        ;       Child Loop BB1_84 Depth 3
                                        ;       Child Loop BB1_90 Depth 3
	s_mov_b32 s40, exec_lo
	v_cmpx_ne_u32_e64 s19, v39
	s_cbranch_execz .LBB1_79
; %bb.81:                               ;   in Loop: Header=BB1_80 Depth=2
	v_add_nc_u32_e32 v22, v39, v32
	s_delay_alu instid0(VALU_DEP_1) | instskip(SKIP_1) | instid1(SALU_CYCLE_1)
	v_cmp_gt_u32_e32 vcc_lo, 0x400, v22
	s_and_b32 s41, vcc_lo, s36
	s_and_b32 exec_lo, exec_lo, s41
	s_cbranch_execz .LBB1_79
; %bb.82:                               ;   in Loop: Header=BB1_80 Depth=2
	v_dual_mov_b32 v24, v6 :: v_dual_bitop2_b32 v22, s38, v22 bitop3:0x54
	v_mov_b32_e32 v26, v30
	s_mov_b32 s42, -1
	global_load_b32 v22, v22, s[8:9] scale_offset
	s_wait_loadcnt 0x0
	s_wait_xcnt 0x0
	v_mul_lo_u32 v22, v22, s18
	s_and_saveexec_b32 s41, s3
	s_cbranch_execz .LBB1_88
; %bb.83:                               ;   in Loop: Header=BB1_80 Depth=2
	v_mov_b64_e32 v[24:25], v[6:7]
	s_delay_alu instid0(VALU_DEP_2)
	v_dual_mov_b32 v23, v22 :: v_dual_mov_b32 v26, v33
	v_mov_b32_e32 v27, v37
	s_mov_b32 s42, 0
.LBB1_84:                               ;   Parent Loop BB1_5 Depth=1
                                        ;     Parent Loop BB1_80 Depth=2
                                        ; =>    This Inner Loop Header: Depth=3
	s_delay_alu instid0(VALU_DEP_2) | instskip(NEXT) | instid1(VALU_DEP_3)
	v_dual_add_nc_u32 v41, v24, v22 :: v_dual_add_nc_u32 v44, v25, v23
	v_add_nc_u32_e32 v26, -2, v26
	v_add_nc_u32_e32 v25, 0x100, v25
	v_add_nc_u32_e32 v24, 0x100, v24
	s_clause 0x1
	global_load_b32 v28, v41, s[12:13] scale_offset
	global_load_b32 v29, v44, s[12:13] scale_offset
	ds_load_2addr_stride64_b32 v[42:43], v27 offset1:2
	v_cmp_eq_u32_e32 vcc_lo, 0, v26
	v_add_nc_u32_e32 v27, 0x400, v27
	s_or_b32 s42, vcc_lo, s42
	s_wait_loadcnt_dscnt 0x0
	v_pk_add_f32 v[28:29], v[42:43], v[28:29]
	s_clause 0x1
	global_store_b32 v41, v28, s[12:13] scale_offset
	global_store_b32 v44, v29, s[12:13] scale_offset
	s_wait_xcnt 0x0
	s_and_not1_b32 exec_lo, exec_lo, s42
	s_cbranch_execnz .LBB1_84
; %bb.85:                               ;   in Loop: Header=BB1_80 Depth=2
	s_or_b32 exec_lo, exec_lo, s42
	s_mov_b32 s42, 0
                                        ; implicit-def: $vgpr26
	s_and_saveexec_b32 s43, s4
; %bb.86:                               ;   in Loop: Header=BB1_80 Depth=2
	v_lshlrev_b32_e32 v26, 2, v34
	s_mov_b32 s42, exec_lo
; %bb.87:                               ;   in Loop: Header=BB1_80 Depth=2
	s_or_b32 exec_lo, exec_lo, s43
	v_mov_b32_e32 v24, v34
	s_or_not1_b32 s42, s42, exec_lo
.LBB1_88:                               ;   in Loop: Header=BB1_80 Depth=2
	s_or_b32 exec_lo, exec_lo, s41
	s_delay_alu instid0(SALU_CYCLE_1)
	s_and_b32 exec_lo, exec_lo, s42
	s_cbranch_execz .LBB1_79
; %bb.89:                               ;   in Loop: Header=BB1_80 Depth=2
	s_delay_alu instid0(VALU_DEP_1) | instskip(SKIP_1) | instid1(VALU_DEP_1)
	v_dual_ashrrev_i32 v25, 31, v24 :: v_dual_ashrrev_i32 v23, 31, v22
	s_mov_b32 s41, 0
	v_add_nc_u64_e32 v[22:23], v[24:25], v[22:23]
	v_add_nc_u32_e32 v25, v35, v26
	s_delay_alu instid0(VALU_DEP_2)
	v_lshl_add_u64 v[22:23], v[22:23], 2, s[12:13]
.LBB1_90:                               ;   Parent Loop BB1_5 Depth=1
                                        ;     Parent Loop BB1_80 Depth=2
                                        ; =>    This Inner Loop Header: Depth=3
	global_load_b32 v26, v[22:23], off
	ds_load_b32 v27, v25
	v_add_nc_u32_e32 v24, 0x80, v24
	v_add_nc_u32_e32 v25, 0x200, v25
	s_delay_alu instid0(VALU_DEP_2)
	v_cmp_le_i32_e32 vcc_lo, s17, v24
	s_or_b32 s41, vcc_lo, s41
	s_wait_loadcnt_dscnt 0x0
	v_add_f32_e32 v26, v27, v26
	global_store_b32 v[22:23], v26, off
	s_wait_xcnt 0x0
	v_add_nc_u64_e32 v[22:23], 0x200, v[22:23]
	s_and_not1_b32 exec_lo, exec_lo, s41
	s_cbranch_execnz .LBB1_90
	s_branch .LBB1_79
.LBB1_91:
	v_lshl_add_u64 v[0:1], v[2:3], 2, s[24:25]
	v_cmp_eq_u32_e32 vcc_lo, 0, v6
	s_wait_xcnt 0x0
	s_and_b32 exec_lo, exec_lo, vcc_lo
	s_cbranch_execz .LBB1_93
; %bb.92:
	s_wait_loadcnt 0x0
	global_store_b32 v[0:1], v4, off
.LBB1_93:
	s_endpgm
	.section	.rodata,"a",@progbits
	.p2align	6, 0x0
	.amdhsa_kernel _Z11device_cbowiiiiiiiPKiS0_PfS1_Pj
		.amdhsa_group_segment_fixed_size 0
		.amdhsa_private_segment_fixed_size 0
		.amdhsa_kernarg_size 328
		.amdhsa_user_sgpr_count 2
		.amdhsa_user_sgpr_dispatch_ptr 0
		.amdhsa_user_sgpr_queue_ptr 0
		.amdhsa_user_sgpr_kernarg_segment_ptr 1
		.amdhsa_user_sgpr_dispatch_id 0
		.amdhsa_user_sgpr_kernarg_preload_length 0
		.amdhsa_user_sgpr_kernarg_preload_offset 0
		.amdhsa_user_sgpr_private_segment_size 0
		.amdhsa_wavefront_size32 1
		.amdhsa_uses_dynamic_stack 0
		.amdhsa_enable_private_segment 0
		.amdhsa_system_sgpr_workgroup_id_x 1
		.amdhsa_system_sgpr_workgroup_id_y 0
		.amdhsa_system_sgpr_workgroup_id_z 0
		.amdhsa_system_sgpr_workgroup_info 0
		.amdhsa_system_vgpr_workitem_id 0
		.amdhsa_next_free_vgpr 50
		.amdhsa_next_free_sgpr 46
		.amdhsa_named_barrier_count 0
		.amdhsa_reserve_vcc 1
		.amdhsa_float_round_mode_32 0
		.amdhsa_float_round_mode_16_64 0
		.amdhsa_float_denorm_mode_32 3
		.amdhsa_float_denorm_mode_16_64 3
		.amdhsa_fp16_overflow 0
		.amdhsa_memory_ordered 1
		.amdhsa_forward_progress 1
		.amdhsa_inst_pref_size 33
		.amdhsa_round_robin_scheduling 0
		.amdhsa_exception_fp_ieee_invalid_op 0
		.amdhsa_exception_fp_denorm_src 0
		.amdhsa_exception_fp_ieee_div_zero 0
		.amdhsa_exception_fp_ieee_overflow 0
		.amdhsa_exception_fp_ieee_underflow 0
		.amdhsa_exception_fp_ieee_inexact 0
		.amdhsa_exception_int_div_zero 0
	.end_amdhsa_kernel
	.text
.Lfunc_end1:
	.size	_Z11device_cbowiiiiiiiPKiS0_PfS1_Pj, .Lfunc_end1-_Z11device_cbowiiiiiiiPKiS0_PfS1_Pj
                                        ; -- End function
	.set _Z11device_cbowiiiiiiiPKiS0_PfS1_Pj.num_vgpr, 50
	.set _Z11device_cbowiiiiiiiPKiS0_PfS1_Pj.num_agpr, 0
	.set _Z11device_cbowiiiiiiiPKiS0_PfS1_Pj.numbered_sgpr, 46
	.set _Z11device_cbowiiiiiiiPKiS0_PfS1_Pj.num_named_barrier, 0
	.set _Z11device_cbowiiiiiiiPKiS0_PfS1_Pj.private_seg_size, 0
	.set _Z11device_cbowiiiiiiiPKiS0_PfS1_Pj.uses_vcc, 1
	.set _Z11device_cbowiiiiiiiPKiS0_PfS1_Pj.uses_flat_scratch, 0
	.set _Z11device_cbowiiiiiiiPKiS0_PfS1_Pj.has_dyn_sized_stack, 0
	.set _Z11device_cbowiiiiiiiPKiS0_PfS1_Pj.has_recursion, 0
	.set _Z11device_cbowiiiiiiiPKiS0_PfS1_Pj.has_indirect_call, 0
	.section	.AMDGPU.csdata,"",@progbits
; Kernel info:
; codeLenInByte = 4168
; TotalNumSgprs: 48
; NumVgprs: 50
; ScratchSize: 0
; MemoryBound: 0
; FloatMode: 240
; IeeeMode: 1
; LDSByteSize: 0 bytes/workgroup (compile time only)
; SGPRBlocks: 0
; VGPRBlocks: 3
; NumSGPRsForWavesPerEU: 48
; NumVGPRsForWavesPerEU: 50
; NamedBarCnt: 0
; Occupancy: 16
; WaveLimiterHint : 0
; COMPUTE_PGM_RSRC2:SCRATCH_EN: 0
; COMPUTE_PGM_RSRC2:USER_SGPR: 2
; COMPUTE_PGM_RSRC2:TRAP_HANDLER: 0
; COMPUTE_PGM_RSRC2:TGID_X_EN: 1
; COMPUTE_PGM_RSRC2:TGID_Y_EN: 0
; COMPUTE_PGM_RSRC2:TGID_Z_EN: 0
; COMPUTE_PGM_RSRC2:TIDIG_COMP_CNT: 0
	.text
	.p2alignl 7, 3214868480
	.fill 96, 4, 3214868480
	.section	.AMDGPU.gpr_maximums,"",@progbits
	.set amdgpu.max_num_vgpr, 0
	.set amdgpu.max_num_agpr, 0
	.set amdgpu.max_num_sgpr, 0
	.text
	.protected	expTable                ; @expTable
	.type	expTable,@object
	.section	.rodata,"a",@progbits
	.globl	expTable
	.p2align	4, 0x0
expTable:
	.zero	4000
	.size	expTable, 4000

	.type	__hip_cuid_de08353bc7079c4c,@object ; @__hip_cuid_de08353bc7079c4c
	.section	.bss,"aw",@nobits
	.globl	__hip_cuid_de08353bc7079c4c
__hip_cuid_de08353bc7079c4c:
	.byte	0                               ; 0x0
	.size	__hip_cuid_de08353bc7079c4c, 1

	.ident	"AMD clang version 22.0.0git (https://github.com/RadeonOpenCompute/llvm-project roc-7.2.4 26084 f58b06dce1f9c15707c5f808fd002e18c2accf7e)"
	.section	".note.GNU-stack","",@progbits
	.addrsig
	.addrsig_sym expTable
	.addrsig_sym shared
	.addrsig_sym __hip_cuid_de08353bc7079c4c
	.amdgpu_metadata
---
amdhsa.kernels:
  - .args:
      - .address_space:  global
        .offset:         0
        .size:           8
        .value_kind:     global_buffer
      - .offset:         8
        .size:           4
        .value_kind:     by_value
      - .offset:         16
        .size:           4
        .value_kind:     hidden_block_count_x
      - .offset:         20
        .size:           4
        .value_kind:     hidden_block_count_y
      - .offset:         24
        .size:           4
        .value_kind:     hidden_block_count_z
      - .offset:         28
        .size:           2
        .value_kind:     hidden_group_size_x
      - .offset:         30
        .size:           2
        .value_kind:     hidden_group_size_y
      - .offset:         32
        .size:           2
        .value_kind:     hidden_group_size_z
      - .offset:         34
        .size:           2
        .value_kind:     hidden_remainder_x
      - .offset:         36
        .size:           2
        .value_kind:     hidden_remainder_y
      - .offset:         38
        .size:           2
        .value_kind:     hidden_remainder_z
      - .offset:         56
        .size:           8
        .value_kind:     hidden_global_offset_x
      - .offset:         64
        .size:           8
        .value_kind:     hidden_global_offset_y
      - .offset:         72
        .size:           8
        .value_kind:     hidden_global_offset_z
      - .offset:         80
        .size:           2
        .value_kind:     hidden_grid_dims
    .group_segment_fixed_size: 0
    .kernarg_segment_align: 8
    .kernarg_segment_size: 272
    .language:       OpenCL C
    .language_version:
      - 2
      - 0
    .max_flat_workgroup_size: 1024
    .name:           _Z13device_memsetPfi
    .private_segment_fixed_size: 0
    .sgpr_count:     7
    .sgpr_spill_count: 0
    .symbol:         _Z13device_memsetPfi.kd
    .uniform_work_group_size: 1
    .uses_dynamic_stack: false
    .vgpr_count:     2
    .vgpr_spill_count: 0
    .wavefront_size: 32
  - .args:
      - .offset:         0
        .size:           4
        .value_kind:     by_value
      - .offset:         4
        .size:           4
        .value_kind:     by_value
      - .offset:         8
        .size:           4
        .value_kind:     by_value
      - .offset:         12
        .size:           4
        .value_kind:     by_value
      - .offset:         16
        .size:           4
        .value_kind:     by_value
      - .offset:         20
        .size:           4
        .value_kind:     by_value
      - .offset:         24
        .size:           4
        .value_kind:     by_value
      - .actual_access:  read_only
        .address_space:  global
        .offset:         32
        .size:           8
        .value_kind:     global_buffer
      - .actual_access:  read_only
        .address_space:  global
        .offset:         40
        .size:           8
        .value_kind:     global_buffer
      - .address_space:  global
        .offset:         48
        .size:           8
        .value_kind:     global_buffer
      - .address_space:  global
        .offset:         56
        .size:           8
        .value_kind:     global_buffer
      - .address_space:  global
        .offset:         64
        .size:           8
        .value_kind:     global_buffer
      - .offset:         72
        .size:           4
        .value_kind:     hidden_block_count_x
      - .offset:         76
        .size:           4
        .value_kind:     hidden_block_count_y
      - .offset:         80
        .size:           4
        .value_kind:     hidden_block_count_z
      - .offset:         84
        .size:           2
        .value_kind:     hidden_group_size_x
      - .offset:         86
        .size:           2
        .value_kind:     hidden_group_size_y
      - .offset:         88
        .size:           2
        .value_kind:     hidden_group_size_z
      - .offset:         90
        .size:           2
        .value_kind:     hidden_remainder_x
      - .offset:         92
        .size:           2
        .value_kind:     hidden_remainder_y
      - .offset:         94
        .size:           2
        .value_kind:     hidden_remainder_z
      - .offset:         112
        .size:           8
        .value_kind:     hidden_global_offset_x
      - .offset:         120
        .size:           8
        .value_kind:     hidden_global_offset_y
      - .offset:         128
        .size:           8
        .value_kind:     hidden_global_offset_z
      - .offset:         136
        .size:           2
        .value_kind:     hidden_grid_dims
      - .offset:         192
        .size:           4
        .value_kind:     hidden_dynamic_lds_size
    .group_segment_fixed_size: 0
    .kernarg_segment_align: 8
    .kernarg_segment_size: 328
    .language:       OpenCL C
    .language_version:
      - 2
      - 0
    .max_flat_workgroup_size: 1024
    .name:           _Z11device_cbowiiiiiiiPKiS0_PfS1_Pj
    .private_segment_fixed_size: 0
    .sgpr_count:     48
    .sgpr_spill_count: 0
    .symbol:         _Z11device_cbowiiiiiiiPKiS0_PfS1_Pj.kd
    .uniform_work_group_size: 1
    .uses_dynamic_stack: false
    .vgpr_count:     50
    .vgpr_spill_count: 0
    .wavefront_size: 32
amdhsa.target:   amdgcn-amd-amdhsa--gfx1250
amdhsa.version:
  - 1
  - 2
...

	.end_amdgpu_metadata
